;; amdgpu-corpus repo=ROCm/rocFFT kind=compiled arch=gfx1030 opt=O3
	.text
	.amdgcn_target "amdgcn-amd-amdhsa--gfx1030"
	.amdhsa_code_object_version 6
	.protected	fft_rtc_back_len726_factors_11_6_11_wgs_132_tpt_66_dp_ip_CI_unitstride_sbrr_R2C_dirReg ; -- Begin function fft_rtc_back_len726_factors_11_6_11_wgs_132_tpt_66_dp_ip_CI_unitstride_sbrr_R2C_dirReg
	.globl	fft_rtc_back_len726_factors_11_6_11_wgs_132_tpt_66_dp_ip_CI_unitstride_sbrr_R2C_dirReg
	.p2align	8
	.type	fft_rtc_back_len726_factors_11_6_11_wgs_132_tpt_66_dp_ip_CI_unitstride_sbrr_R2C_dirReg,@function
fft_rtc_back_len726_factors_11_6_11_wgs_132_tpt_66_dp_ip_CI_unitstride_sbrr_R2C_dirReg: ; @fft_rtc_back_len726_factors_11_6_11_wgs_132_tpt_66_dp_ip_CI_unitstride_sbrr_R2C_dirReg
; %bb.0:
	s_clause 0x2
	s_load_dwordx4 s[8:11], s[4:5], 0x0
	s_load_dwordx2 s[2:3], s[4:5], 0x50
	s_load_dwordx2 s[12:13], s[4:5], 0x18
	v_mul_u32_u24_e32 v1, 0x3e1, v0
	v_mov_b32_e32 v3, 0
	v_lshrrev_b32_e32 v9, 16, v1
	v_mov_b32_e32 v1, 0
	v_mov_b32_e32 v6, v3
	v_mov_b32_e32 v2, 0
	v_lshl_add_u32 v5, s6, 1, v9
	s_waitcnt lgkmcnt(0)
	v_cmp_lt_u64_e64 s0, s[10:11], 2
	s_and_b32 vcc_lo, exec_lo, s0
	s_cbranch_vccnz .LBB0_8
; %bb.1:
	s_load_dwordx2 s[0:1], s[4:5], 0x10
	v_mov_b32_e32 v1, 0
	s_add_u32 s6, s12, 8
	v_mov_b32_e32 v2, 0
	s_addc_u32 s7, s13, 0
	s_mov_b64 s[16:17], 1
	s_waitcnt lgkmcnt(0)
	s_add_u32 s14, s0, 8
	s_addc_u32 s15, s1, 0
.LBB0_2:                                ; =>This Inner Loop Header: Depth=1
	s_load_dwordx2 s[18:19], s[14:15], 0x0
                                        ; implicit-def: $vgpr7_vgpr8
	s_mov_b32 s0, exec_lo
	s_waitcnt lgkmcnt(0)
	v_or_b32_e32 v4, s19, v6
	v_cmpx_ne_u64_e32 0, v[3:4]
	s_xor_b32 s1, exec_lo, s0
	s_cbranch_execz .LBB0_4
; %bb.3:                                ;   in Loop: Header=BB0_2 Depth=1
	v_cvt_f32_u32_e32 v4, s18
	v_cvt_f32_u32_e32 v7, s19
	s_sub_u32 s0, 0, s18
	s_subb_u32 s20, 0, s19
	v_fmac_f32_e32 v4, 0x4f800000, v7
	v_rcp_f32_e32 v4, v4
	v_mul_f32_e32 v4, 0x5f7ffffc, v4
	v_mul_f32_e32 v7, 0x2f800000, v4
	v_trunc_f32_e32 v7, v7
	v_fmac_f32_e32 v4, 0xcf800000, v7
	v_cvt_u32_f32_e32 v7, v7
	v_cvt_u32_f32_e32 v4, v4
	v_mul_lo_u32 v8, s0, v7
	v_mul_hi_u32 v10, s0, v4
	v_mul_lo_u32 v11, s20, v4
	v_add_nc_u32_e32 v8, v10, v8
	v_mul_lo_u32 v10, s0, v4
	v_add_nc_u32_e32 v8, v8, v11
	v_mul_hi_u32 v11, v4, v10
	v_mul_lo_u32 v12, v4, v8
	v_mul_hi_u32 v13, v4, v8
	v_mul_hi_u32 v14, v7, v10
	v_mul_lo_u32 v10, v7, v10
	v_mul_hi_u32 v15, v7, v8
	v_mul_lo_u32 v8, v7, v8
	v_add_co_u32 v11, vcc_lo, v11, v12
	v_add_co_ci_u32_e32 v12, vcc_lo, 0, v13, vcc_lo
	v_add_co_u32 v10, vcc_lo, v11, v10
	v_add_co_ci_u32_e32 v10, vcc_lo, v12, v14, vcc_lo
	v_add_co_ci_u32_e32 v11, vcc_lo, 0, v15, vcc_lo
	v_add_co_u32 v8, vcc_lo, v10, v8
	v_add_co_ci_u32_e32 v10, vcc_lo, 0, v11, vcc_lo
	v_add_co_u32 v4, vcc_lo, v4, v8
	v_add_co_ci_u32_e32 v7, vcc_lo, v7, v10, vcc_lo
	v_mul_hi_u32 v8, s0, v4
	v_mul_lo_u32 v11, s20, v4
	v_mul_lo_u32 v10, s0, v7
	v_add_nc_u32_e32 v8, v8, v10
	v_mul_lo_u32 v10, s0, v4
	v_add_nc_u32_e32 v8, v8, v11
	v_mul_hi_u32 v11, v4, v10
	v_mul_lo_u32 v12, v4, v8
	v_mul_hi_u32 v13, v4, v8
	v_mul_hi_u32 v14, v7, v10
	v_mul_lo_u32 v10, v7, v10
	v_mul_hi_u32 v15, v7, v8
	v_mul_lo_u32 v8, v7, v8
	v_add_co_u32 v11, vcc_lo, v11, v12
	v_add_co_ci_u32_e32 v12, vcc_lo, 0, v13, vcc_lo
	v_add_co_u32 v10, vcc_lo, v11, v10
	v_add_co_ci_u32_e32 v10, vcc_lo, v12, v14, vcc_lo
	v_add_co_ci_u32_e32 v11, vcc_lo, 0, v15, vcc_lo
	v_add_co_u32 v8, vcc_lo, v10, v8
	v_add_co_ci_u32_e32 v10, vcc_lo, 0, v11, vcc_lo
	v_add_co_u32 v4, vcc_lo, v4, v8
	v_add_co_ci_u32_e32 v12, vcc_lo, v7, v10, vcc_lo
	v_mul_hi_u32 v14, v5, v4
	v_mad_u64_u32 v[10:11], null, v6, v4, 0
	v_mad_u64_u32 v[7:8], null, v5, v12, 0
	;; [unrolled: 1-line block ×3, first 2 shown]
	v_add_co_u32 v4, vcc_lo, v14, v7
	v_add_co_ci_u32_e32 v7, vcc_lo, 0, v8, vcc_lo
	v_add_co_u32 v4, vcc_lo, v4, v10
	v_add_co_ci_u32_e32 v4, vcc_lo, v7, v11, vcc_lo
	v_add_co_ci_u32_e32 v7, vcc_lo, 0, v13, vcc_lo
	v_add_co_u32 v4, vcc_lo, v4, v12
	v_add_co_ci_u32_e32 v10, vcc_lo, 0, v7, vcc_lo
	v_mul_lo_u32 v11, s19, v4
	v_mad_u64_u32 v[7:8], null, s18, v4, 0
	v_mul_lo_u32 v12, s18, v10
	v_sub_co_u32 v7, vcc_lo, v5, v7
	v_add3_u32 v8, v8, v12, v11
	v_sub_nc_u32_e32 v11, v6, v8
	v_subrev_co_ci_u32_e64 v11, s0, s19, v11, vcc_lo
	v_add_co_u32 v12, s0, v4, 2
	v_add_co_ci_u32_e64 v13, s0, 0, v10, s0
	v_sub_co_u32 v14, s0, v7, s18
	v_sub_co_ci_u32_e32 v8, vcc_lo, v6, v8, vcc_lo
	v_subrev_co_ci_u32_e64 v11, s0, 0, v11, s0
	v_cmp_le_u32_e32 vcc_lo, s18, v14
	v_cmp_eq_u32_e64 s0, s19, v8
	v_cndmask_b32_e64 v14, 0, -1, vcc_lo
	v_cmp_le_u32_e32 vcc_lo, s19, v11
	v_cndmask_b32_e64 v15, 0, -1, vcc_lo
	v_cmp_le_u32_e32 vcc_lo, s18, v7
	;; [unrolled: 2-line block ×3, first 2 shown]
	v_cndmask_b32_e64 v16, 0, -1, vcc_lo
	v_cmp_eq_u32_e32 vcc_lo, s19, v11
	v_cndmask_b32_e64 v7, v16, v7, s0
	v_cndmask_b32_e32 v11, v15, v14, vcc_lo
	v_add_co_u32 v14, vcc_lo, v4, 1
	v_add_co_ci_u32_e32 v15, vcc_lo, 0, v10, vcc_lo
	v_cmp_ne_u32_e32 vcc_lo, 0, v11
	v_cndmask_b32_e32 v8, v15, v13, vcc_lo
	v_cndmask_b32_e32 v11, v14, v12, vcc_lo
	v_cmp_ne_u32_e32 vcc_lo, 0, v7
	v_cndmask_b32_e32 v8, v10, v8, vcc_lo
	v_cndmask_b32_e32 v7, v4, v11, vcc_lo
.LBB0_4:                                ;   in Loop: Header=BB0_2 Depth=1
	s_andn2_saveexec_b32 s0, s1
	s_cbranch_execz .LBB0_6
; %bb.5:                                ;   in Loop: Header=BB0_2 Depth=1
	v_cvt_f32_u32_e32 v4, s18
	s_sub_i32 s1, 0, s18
	v_rcp_iflag_f32_e32 v4, v4
	v_mul_f32_e32 v4, 0x4f7ffffe, v4
	v_cvt_u32_f32_e32 v4, v4
	v_mul_lo_u32 v7, s1, v4
	v_mul_hi_u32 v7, v4, v7
	v_add_nc_u32_e32 v4, v4, v7
	v_mul_hi_u32 v4, v5, v4
	v_mul_lo_u32 v7, v4, s18
	v_add_nc_u32_e32 v8, 1, v4
	v_sub_nc_u32_e32 v7, v5, v7
	v_subrev_nc_u32_e32 v10, s18, v7
	v_cmp_le_u32_e32 vcc_lo, s18, v7
	v_cndmask_b32_e32 v7, v7, v10, vcc_lo
	v_cndmask_b32_e32 v4, v4, v8, vcc_lo
	v_cmp_le_u32_e32 vcc_lo, s18, v7
	v_add_nc_u32_e32 v8, 1, v4
	v_cndmask_b32_e32 v7, v4, v8, vcc_lo
	v_mov_b32_e32 v8, v3
.LBB0_6:                                ;   in Loop: Header=BB0_2 Depth=1
	s_or_b32 exec_lo, exec_lo, s0
	s_load_dwordx2 s[0:1], s[6:7], 0x0
	v_mul_lo_u32 v4, v8, s18
	v_mul_lo_u32 v12, v7, s19
	v_mad_u64_u32 v[10:11], null, v7, s18, 0
	s_add_u32 s16, s16, 1
	s_addc_u32 s17, s17, 0
	s_add_u32 s6, s6, 8
	s_addc_u32 s7, s7, 0
	;; [unrolled: 2-line block ×3, first 2 shown]
	v_add3_u32 v4, v11, v12, v4
	v_sub_co_u32 v5, vcc_lo, v5, v10
	v_sub_co_ci_u32_e32 v4, vcc_lo, v6, v4, vcc_lo
	s_waitcnt lgkmcnt(0)
	v_mul_lo_u32 v6, s1, v5
	v_mul_lo_u32 v4, s0, v4
	v_mad_u64_u32 v[1:2], null, s0, v5, v[1:2]
	v_cmp_ge_u64_e64 s0, s[16:17], s[10:11]
	s_and_b32 vcc_lo, exec_lo, s0
	v_add3_u32 v2, v6, v2, v4
	s_cbranch_vccnz .LBB0_9
; %bb.7:                                ;   in Loop: Header=BB0_2 Depth=1
	v_mov_b32_e32 v5, v7
	v_mov_b32_e32 v6, v8
	s_branch .LBB0_2
.LBB0_8:
	v_mov_b32_e32 v8, v6
	v_mov_b32_e32 v7, v5
.LBB0_9:
	s_lshl_b64 s[0:1], s[10:11], 3
	v_mul_hi_u32 v3, 0x3e0f83f, v0
	s_add_u32 s0, s12, s0
	s_addc_u32 s1, s13, s1
	v_and_b32_e32 v6, 1, v9
	s_load_dwordx2 s[0:1], s[0:1], 0x0
	s_load_dwordx2 s[4:5], s[4:5], 0x20
	v_mul_u32_u24_e32 v3, 0x42, v3
	v_sub_nc_u32_e32 v48, v0, v3
	v_add_nc_u32_e32 v52, 0x42, v48
	s_waitcnt lgkmcnt(0)
	v_mul_lo_u32 v4, s0, v8
	v_mul_lo_u32 v5, s1, v7
	v_mad_u64_u32 v[1:2], null, s0, v7, v[1:2]
	v_cmp_gt_u64_e32 vcc_lo, s[4:5], v[7:8]
	v_cmp_le_u64_e64 s1, s[4:5], v[7:8]
	v_cmp_eq_u32_e64 s0, 1, v6
	v_add3_u32 v2, v5, v2, v4
	s_and_saveexec_b32 s4, s1
	s_xor_b32 s1, exec_lo, s4
; %bb.10:
	v_add_nc_u32_e32 v52, 0x42, v48
; %bb.11:
	s_or_saveexec_b32 s1, s1
	v_cndmask_b32_e64 v0, 0, 0x2d7, s0
	v_lshlrev_b64 v[50:51], 4, v[1:2]
	v_lshlrev_b32_e32 v67, 4, v48
	v_lshlrev_b32_e32 v53, 4, v0
	s_xor_b32 exec_lo, exec_lo, s1
	s_cbranch_execz .LBB0_13
; %bb.12:
	v_mov_b32_e32 v49, 0
	v_add_co_u32 v2, s0, s2, v50
	v_add_co_ci_u32_e64 v3, s0, s3, v51, s0
	v_lshlrev_b64 v[0:1], 4, v[48:49]
	v_add3_u32 v44, 0, v53, v67
	v_add_co_u32 v24, s0, v2, v0
	v_add_co_ci_u32_e64 v25, s0, v3, v1, s0
	v_add_co_u32 v12, s0, 0x800, v24
	v_add_co_ci_u32_e64 v13, s0, 0, v25, s0
	v_add_co_u32 v20, s0, 0x1000, v24
	v_add_co_ci_u32_e64 v21, s0, 0, v25, s0
	v_add_co_u32 v28, s0, 0x1800, v24
	v_add_co_ci_u32_e64 v29, s0, 0, v25, s0
	v_add_co_u32 v36, s0, 0x2000, v24
	v_add_co_ci_u32_e64 v37, s0, 0, v25, s0
	v_add_co_u32 v40, s0, 0x2800, v24
	v_add_co_ci_u32_e64 v41, s0, 0, v25, s0
	s_clause 0xa
	global_load_dwordx4 v[0:3], v[24:25], off
	global_load_dwordx4 v[4:7], v[24:25], off offset:1056
	global_load_dwordx4 v[8:11], v[12:13], off offset:64
	;; [unrolled: 1-line block ×10, first 2 shown]
	s_waitcnt vmcnt(10)
	ds_write_b128 v44, v[0:3]
	s_waitcnt vmcnt(9)
	ds_write_b128 v44, v[4:7] offset:1056
	s_waitcnt vmcnt(8)
	ds_write_b128 v44, v[8:11] offset:2112
	;; [unrolled: 2-line block ×10, first 2 shown]
.LBB0_13:
	s_or_b32 exec_lo, exec_lo, s1
	v_add_nc_u32_e32 v66, 0, v53
	v_add3_u32 v49, 0, v67, v53
	s_waitcnt lgkmcnt(0)
	s_barrier
	buffer_gl0_inv
	v_add_nc_u32_e32 v65, v66, v67
	s_mov_b32 s24, 0xf8bb580b
	s_mov_b32 s6, 0x8eee2c13
	s_mov_b32 s26, 0x8764f0ba
	s_mov_b32 s14, 0xd9c712b6
	ds_read_b128 v[0:3], v65
	ds_read_b128 v[4:7], v49 offset:1056
	ds_read_b128 v[8:11], v49 offset:8448
	;; [unrolled: 1-line block ×10, first 2 shown]
	s_mov_b32 s25, 0xbfe14ced
	s_mov_b32 s7, 0xbfed1bb4
	;; [unrolled: 1-line block ×14, first 2 shown]
	s_waitcnt lgkmcnt(9)
	v_add_f64 v[44:45], v[0:1], v[4:5]
	v_add_f64 v[46:47], v[2:3], v[6:7]
	s_waitcnt lgkmcnt(6)
	v_add_f64 v[54:55], v[18:19], -v[14:15]
	v_add_f64 v[56:57], v[18:19], v[14:15]
	s_waitcnt lgkmcnt(5)
	v_add_f64 v[72:73], v[20:21], v[8:9]
	v_add_f64 v[74:75], v[20:21], -v[8:9]
	s_waitcnt lgkmcnt(0)
	v_add_f64 v[86:87], v[6:7], -v[42:43]
	v_add_f64 v[6:7], v[6:7], v[42:43]
	v_add_f64 v[88:89], v[4:5], v[40:41]
	v_add_f64 v[4:5], v[4:5], -v[40:41]
	s_mov_b32 s34, s24
	s_mov_b32 s20, s6
	v_add_f64 v[58:59], v[22:23], v[10:11]
	v_add_f64 v[60:61], v[34:35], -v[30:31]
	v_add_f64 v[62:63], v[34:35], v[30:31]
	v_add_f64 v[84:85], v[16:17], v[12:13]
	s_mov_b32 s0, 0xfd768dbf
	s_mov_b32 s16, 0x9bcd5057
	;; [unrolled: 1-line block ×6, first 2 shown]
	v_add_f64 v[44:45], v[44:45], v[16:17]
	v_add_f64 v[18:19], v[46:47], v[18:19]
	v_add_f64 v[46:47], v[22:23], -v[10:11]
	v_add_f64 v[16:17], v[16:17], -v[12:13]
	v_mul_f64 v[90:91], v[54:55], s[6:7]
	v_mul_f64 v[92:93], v[56:57], s[14:15]
	;; [unrolled: 1-line block ×10, first 2 shown]
	s_mov_b32 s29, 0x3fd207e7
	s_mov_b32 s22, s4
	;; [unrolled: 1-line block ×4, first 2 shown]
	v_add_f64 v[76:77], v[32:33], v[28:29]
	v_add_f64 v[78:79], v[32:33], -v[28:29]
	v_mul_f64 v[108:109], v[58:59], s[16:17]
	v_mul_f64 v[110:111], v[60:61], s[22:23]
	v_add_f64 v[20:21], v[44:45], v[20:21]
	v_add_f64 v[18:19], v[18:19], v[22:23]
	v_mul_f64 v[22:23], v[46:47], s[4:5]
	v_mul_f64 v[44:45], v[58:59], s[10:11]
	;; [unrolled: 1-line block ×4, first 2 shown]
	v_fma_f64 v[154:155], v[88:89], s[26:27], v[122:123]
	v_fma_f64 v[156:157], v[4:5], s[34:35], v[124:125]
	;; [unrolled: 1-line block ×4, first 2 shown]
	v_fma_f64 v[126:127], v[88:89], s[14:15], -v[126:127]
	v_fma_f64 v[128:129], v[4:5], s[6:7], v[128:129]
	v_mul_f64 v[118:119], v[54:55], s[28:29]
	v_mul_f64 v[120:121], v[56:57], s[16:17]
	v_fma_f64 v[146:147], v[84:85], s[14:15], v[90:91]
	v_fma_f64 v[148:149], v[16:17], s[20:21], v[92:93]
	;; [unrolled: 1-line block ×4, first 2 shown]
	v_fma_f64 v[102:103], v[84:85], s[18:19], -v[102:103]
	v_fma_f64 v[104:105], v[16:17], s[12:13], v[104:105]
	v_fma_f64 v[178:179], v[88:89], s[10:11], v[138:139]
	;; [unrolled: 1-line block ×3, first 2 shown]
	v_add_f64 v[20:21], v[20:21], v[32:33]
	v_add_f64 v[18:19], v[18:19], v[34:35]
	v_add_f64 v[68:69], v[38:39], -v[26:27]
	v_add_f64 v[70:71], v[38:39], v[26:27]
	v_add_f64 v[80:81], v[36:37], v[24:25]
	v_add_f64 v[82:83], v[36:37], -v[24:25]
	v_add_f64 v[154:155], v[0:1], v[154:155]
	v_add_f64 v[156:157], v[2:3], v[156:157]
	v_mul_f64 v[94:95], v[60:61], s[12:13]
	v_mul_f64 v[96:97], v[62:63], s[18:19]
	v_add_f64 v[126:127], v[0:1], v[126:127]
	v_add_f64 v[128:129], v[2:3], v[128:129]
	v_mul_f64 v[140:141], v[86:87], s[12:13]
	v_mul_f64 v[86:87], v[86:87], s[0:1]
	;; [unrolled: 1-line block ×4, first 2 shown]
	v_fma_f64 v[150:151], v[72:73], s[10:11], v[22:23]
	v_fma_f64 v[152:153], v[74:75], s[22:23], v[44:45]
	;; [unrolled: 1-line block ×6, first 2 shown]
	v_add_f64 v[20:21], v[20:21], v[36:37]
	v_add_f64 v[18:19], v[18:19], v[38:39]
	;; [unrolled: 1-line block ×8, first 2 shown]
	v_mul_f64 v[32:33], v[46:47], s[20:21]
	v_mul_f64 v[34:35], v[58:59], s[14:15]
	v_add_f64 v[102:103], v[102:103], v[126:127]
	v_add_f64 v[104:105], v[104:105], v[128:129]
	v_mul_f64 v[114:115], v[68:69], s[34:35]
	v_mul_f64 v[116:117], v[70:71], s[26:27]
	;; [unrolled: 1-line block ×4, first 2 shown]
	v_fma_f64 v[36:37], v[76:77], s[18:19], v[94:95]
	v_fma_f64 v[38:39], v[78:79], s[30:31], v[96:97]
	v_mul_f64 v[54:55], v[54:55], s[34:35]
	v_mul_f64 v[56:57], v[56:57], s[26:27]
	;; [unrolled: 1-line block ×4, first 2 shown]
	v_add_f64 v[20:21], v[20:21], v[24:25]
	v_add_f64 v[18:19], v[18:19], v[26:27]
	v_fma_f64 v[24:25], v[72:73], s[16:17], -v[106:107]
	v_fma_f64 v[26:27], v[74:75], s[28:29], v[108:109]
	v_fma_f64 v[106:107], v[76:77], s[10:11], -v[110:111]
	v_fma_f64 v[108:109], v[78:79], s[22:23], v[112:113]
	v_fma_f64 v[110:111], v[84:85], s[16:17], v[118:119]
	;; [unrolled: 1-line block ×3, first 2 shown]
	v_fma_f64 v[118:119], v[84:85], s[16:17], -v[118:119]
	v_fma_f64 v[120:121], v[16:17], s[28:29], v[120:121]
	v_add_f64 v[154:155], v[166:167], v[158:159]
	v_add_f64 v[156:157], v[168:169], v[160:161]
	v_fma_f64 v[158:159], v[88:89], s[16:17], v[86:87]
	v_fma_f64 v[160:161], v[4:5], s[28:29], v[6:7]
	v_fma_f64 v[86:87], v[88:89], s[16:17], -v[86:87]
	v_fma_f64 v[182:183], v[72:73], s[14:15], v[32:33]
	v_fma_f64 v[184:185], v[74:75], s[6:7], v[34:35]
	v_fma_f64 v[32:33], v[72:73], s[14:15], -v[32:33]
	v_fma_f64 v[34:35], v[74:75], s[20:21], v[34:35]
	v_mul_f64 v[98:99], v[68:69], s[0:1]
	v_fma_f64 v[186:187], v[76:77], s[26:27], v[130:131]
	v_fma_f64 v[188:189], v[78:79], s[34:35], v[132:133]
	v_add_f64 v[20:21], v[20:21], v[28:29]
	v_add_f64 v[18:19], v[18:19], v[30:31]
	v_fma_f64 v[28:29], v[88:89], s[26:27], -v[122:123]
	v_fma_f64 v[30:31], v[4:5], s[24:25], v[124:125]
	v_fma_f64 v[122:123], v[88:89], s[10:11], -v[138:139]
	v_fma_f64 v[124:125], v[4:5], s[4:5], v[142:143]
	v_fma_f64 v[138:139], v[88:89], s[18:19], v[140:141]
	v_fma_f64 v[142:143], v[4:5], s[30:31], v[144:145]
	v_fma_f64 v[140:141], v[88:89], s[18:19], -v[140:141]
	v_fma_f64 v[144:145], v[4:5], s[12:13], v[144:145]
	v_fma_f64 v[4:5], v[4:5], s[0:1], v[6:7]
	v_add_f64 v[6:7], v[110:111], v[178:179]
	v_add_f64 v[88:89], v[112:113], v[180:181]
	;; [unrolled: 1-line block ×6, first 2 shown]
	v_fma_f64 v[102:103], v[80:81], s[26:27], v[114:115]
	v_fma_f64 v[104:105], v[82:83], s[24:25], v[116:117]
	v_mul_f64 v[100:101], v[70:71], s[16:17]
	v_add_f64 v[126:127], v[170:171], v[154:155]
	v_add_f64 v[128:129], v[172:173], v[156:157]
	;; [unrolled: 1-line block ×19, first 2 shown]
	v_fma_f64 v[110:111], v[80:81], s[26:27], -v[114:115]
	v_fma_f64 v[112:113], v[82:83], s[34:35], v[116:117]
	v_fma_f64 v[24:25], v[84:85], s[10:11], v[134:135]
	;; [unrolled: 1-line block ×3, first 2 shown]
	v_mul_f64 v[114:115], v[46:47], s[24:25]
	v_mul_f64 v[116:117], v[58:59], s[26:27]
	;; [unrolled: 1-line block ×4, first 2 shown]
	v_add_f64 v[2:3], v[2:3], v[4:5]
	v_add_f64 v[28:29], v[118:119], v[28:29]
	;; [unrolled: 1-line block ×3, first 2 shown]
	v_fma_f64 v[118:119], v[84:85], s[10:11], -v[134:135]
	v_fma_f64 v[120:121], v[16:17], s[22:23], v[136:137]
	v_fma_f64 v[134:135], v[84:85], s[26:27], v[54:55]
	;; [unrolled: 1-line block ×3, first 2 shown]
	v_add_f64 v[4:5], v[182:183], v[6:7]
	v_add_f64 v[6:7], v[184:185], v[88:89]
	;; [unrolled: 1-line block ×4, first 2 shown]
	v_mul_f64 v[12:13], v[68:69], s[12:13]
	v_mul_f64 v[14:15], v[70:71], s[18:19]
	v_fma_f64 v[162:163], v[80:81], s[16:17], v[98:99]
	v_fma_f64 v[164:165], v[82:83], s[28:29], v[100:101]
	v_add_f64 v[86:87], v[174:175], v[126:127]
	v_add_f64 v[24:25], v[24:25], v[122:123]
	;; [unrolled: 1-line block ×3, first 2 shown]
	v_mul_f64 v[122:123], v[60:61], s[0:1]
	v_mul_f64 v[124:125], v[62:63], s[16:17]
	;; [unrolled: 1-line block ×4, first 2 shown]
	v_add_f64 v[88:89], v[176:177], v[128:129]
	v_add_f64 v[28:29], v[32:33], v[28:29]
	;; [unrolled: 1-line block ×3, first 2 shown]
	v_fma_f64 v[32:33], v[84:85], s[26:27], -v[54:55]
	v_fma_f64 v[34:35], v[16:17], s[34:35], v[56:57]
	v_fma_f64 v[84:85], v[84:85], s[14:15], -v[90:91]
	v_fma_f64 v[16:17], v[16:17], s[6:7], v[92:93]
	v_fma_f64 v[90:91], v[72:73], s[26:27], v[114:115]
	;; [unrolled: 1-line block ×3, first 2 shown]
	v_fma_f64 v[54:55], v[76:77], s[26:27], -v[130:131]
	v_fma_f64 v[56:57], v[78:79], s[24:25], v[132:133]
	v_add_f64 v[118:119], v[118:119], v[138:139]
	v_add_f64 v[120:121], v[120:121], v[140:141]
	v_fma_f64 v[114:115], v[72:73], s[26:27], -v[114:115]
	v_fma_f64 v[116:117], v[74:75], s[24:25], v[116:117]
	v_add_f64 v[130:131], v[134:135], v[142:143]
	v_add_f64 v[132:133], v[136:137], v[144:145]
	v_fma_f64 v[134:135], v[72:73], s[18:19], v[46:47]
	v_fma_f64 v[136:137], v[74:75], s[30:31], v[58:59]
	v_add_f64 v[4:5], v[186:187], v[4:5]
	v_add_f64 v[6:7], v[188:189], v[6:7]
	v_fma_f64 v[126:127], v[80:81], s[18:19], v[12:13]
	v_fma_f64 v[128:129], v[82:83], s[30:31], v[14:15]
	s_barrier
	v_add_f64 v[0:1], v[32:33], v[0:1]
	v_add_f64 v[2:3], v[34:35], v[2:3]
	v_fma_f64 v[32:33], v[72:73], s[18:19], -v[46:47]
	v_fma_f64 v[34:35], v[74:75], s[12:13], v[58:59]
	v_add_f64 v[18:19], v[84:85], v[18:19]
	v_add_f64 v[16:17], v[16:17], v[20:21]
	v_fma_f64 v[20:21], v[72:73], s[10:11], -v[22:23]
	v_fma_f64 v[22:23], v[74:75], s[4:5], v[44:45]
	v_add_f64 v[24:25], v[90:91], v[24:25]
	v_add_f64 v[26:27], v[92:93], v[26:27]
	v_fma_f64 v[44:45], v[76:77], s[16:17], v[122:123]
	v_fma_f64 v[46:47], v[78:79], s[28:29], v[124:125]
	v_mul_f64 v[58:59], v[68:69], s[20:21]
	v_mul_f64 v[72:73], v[70:71], s[14:15]
	v_add_f64 v[74:75], v[114:115], v[118:119]
	v_add_f64 v[84:85], v[116:117], v[120:121]
	v_fma_f64 v[90:91], v[76:77], s[16:17], -v[122:123]
	v_fma_f64 v[92:93], v[78:79], s[0:1], v[124:125]
	v_add_f64 v[114:115], v[134:135], v[130:131]
	v_add_f64 v[116:117], v[136:137], v[132:133]
	v_fma_f64 v[118:119], v[76:77], s[14:15], v[60:61]
	v_fma_f64 v[120:121], v[78:79], s[6:7], v[62:63]
	v_mul_f64 v[68:69], v[68:69], s[4:5]
	v_mul_f64 v[70:71], v[70:71], s[10:11]
	v_add_f64 v[0:1], v[32:33], v[0:1]
	v_add_f64 v[2:3], v[34:35], v[2:3]
	v_fma_f64 v[32:33], v[76:77], s[14:15], -v[60:61]
	v_fma_f64 v[34:35], v[78:79], s[20:21], v[62:63]
	v_add_f64 v[18:19], v[20:21], v[18:19]
	v_add_f64 v[16:17], v[22:23], v[16:17]
	v_fma_f64 v[20:21], v[76:77], s[18:19], -v[94:95]
	v_fma_f64 v[22:23], v[78:79], s[12:13], v[96:97]
	v_add_f64 v[44:45], v[44:45], v[24:25]
	v_add_f64 v[46:47], v[46:47], v[26:27]
	v_fma_f64 v[76:77], v[80:81], s[14:15], v[58:59]
	v_fma_f64 v[78:79], v[82:83], s[6:7], v[72:73]
	v_fma_f64 v[58:59], v[80:81], s[14:15], -v[58:59]
	v_fma_f64 v[72:73], v[82:83], s[20:21], v[72:73]
	v_add_f64 v[74:75], v[90:91], v[74:75]
	v_add_f64 v[84:85], v[92:93], v[84:85]
	;; [unrolled: 1-line block ×6, first 2 shown]
	v_fma_f64 v[94:95], v[80:81], s[10:11], v[68:69]
	v_fma_f64 v[96:97], v[82:83], s[22:23], v[70:71]
	v_fma_f64 v[68:69], v[80:81], s[10:11], -v[68:69]
	v_fma_f64 v[70:71], v[82:83], s[4:5], v[70:71]
	v_add_f64 v[0:1], v[32:33], v[0:1]
	v_add_f64 v[2:3], v[34:35], v[2:3]
	v_fma_f64 v[60:61], v[80:81], s[18:19], -v[12:13]
	v_fma_f64 v[62:63], v[82:83], s[12:13], v[14:15]
	v_add_f64 v[18:19], v[20:21], v[18:19]
	v_add_f64 v[114:115], v[22:23], v[16:17]
	;; [unrolled: 4-line block ×3, first 2 shown]
	v_add_f64 v[24:25], v[162:163], v[36:37]
	v_add_f64 v[26:27], v[164:165], v[38:39]
	;; [unrolled: 1-line block ×20, first 2 shown]
	v_mad_u32_u24 v44, 0xa0, v48, v49
	buffer_gl0_inv
	ds_write_b128 v44, v[20:23]
	ds_write_b128 v44, v[24:27] offset:16
	ds_write_b128 v44, v[28:31] offset:32
	;; [unrolled: 1-line block ×10, first 2 shown]
	s_waitcnt lgkmcnt(0)
	s_barrier
	buffer_gl0_inv
	ds_read_b128 v[24:27], v65
	ds_read_b128 v[28:31], v49 offset:1936
	ds_read_b128 v[32:35], v49 offset:3872
	;; [unrolled: 1-line block ×5, first 2 shown]
	v_cmp_gt_u32_e64 s0, 55, v48
	v_lshlrev_b32_e32 v54, 4, v52
                                        ; implicit-def: $vgpr22_vgpr23
	s_and_saveexec_b32 s1, s0
	s_cbranch_execz .LBB0_15
; %bb.14:
	v_add3_u32 v0, 0, v54, v53
	ds_read_b128 v[4:7], v49 offset:2992
	ds_read_b128 v[8:11], v49 offset:4928
	;; [unrolled: 1-line block ×4, first 2 shown]
	ds_read_b128 v[0:3], v0
	ds_read_b128 v[20:23], v49 offset:10736
.LBB0_15:
	s_or_b32 exec_lo, exec_lo, s1
	v_and_b32_e32 v55, 0xff, v48
	s_mov_b32 s4, 0xe8584caa
	s_mov_b32 s5, 0xbfebb67a
	;; [unrolled: 1-line block ×4, first 2 shown]
	v_mul_lo_u16 v55, 0x75, v55
	v_lshrrev_b16 v55, 8, v55
	v_sub_nc_u16 v56, v48, v55
	v_lshrrev_b16 v56, 1, v56
	v_and_b32_e32 v56, 0x7f, v56
	v_add_nc_u16 v55, v56, v55
	v_lshrrev_b16 v64, 3, v55
	v_mov_b32_e32 v55, 5
	v_mul_lo_u16 v56, v64, 11
	v_sub_nc_u16 v86, v48, v56
	v_mul_u32_u24_sdwa v56, v86, v55 dst_sel:DWORD dst_unused:UNUSED_PAD src0_sel:BYTE_0 src1_sel:DWORD
	v_lshlrev_b32_e32 v76, 4, v56
	s_clause 0x4
	global_load_dwordx4 v[56:59], v76, s[8:9] offset:32
	global_load_dwordx4 v[60:63], v76, s[8:9] offset:64
	global_load_dwordx4 v[68:71], v76, s[8:9]
	global_load_dwordx4 v[72:75], v76, s[8:9] offset:16
	global_load_dwordx4 v[76:79], v76, s[8:9] offset:48
	s_waitcnt vmcnt(0) lgkmcnt(0)
	s_barrier
	buffer_gl0_inv
	v_mul_f64 v[80:81], v[40:41], v[58:59]
	v_mul_f64 v[82:83], v[44:45], v[62:63]
	;; [unrolled: 1-line block ×6, first 2 shown]
	v_fma_f64 v[42:43], v[42:43], v[56:57], -v[80:81]
	v_fma_f64 v[46:47], v[46:47], v[60:61], -v[82:83]
	v_mul_f64 v[80:81], v[34:35], v[74:75]
	v_mul_f64 v[74:75], v[32:33], v[74:75]
	;; [unrolled: 1-line block ×4, first 2 shown]
	v_fma_f64 v[40:41], v[40:41], v[56:57], v[58:59]
	v_fma_f64 v[44:45], v[44:45], v[60:61], v[62:63]
	v_fma_f64 v[30:31], v[30:31], v[68:69], -v[84:85]
	v_fma_f64 v[28:29], v[28:29], v[68:69], v[70:71]
	v_add_f64 v[56:57], v[42:43], v[46:47]
	v_fma_f64 v[32:33], v[32:33], v[72:73], v[80:81]
	v_fma_f64 v[34:35], v[34:35], v[72:73], -v[74:75]
	v_fma_f64 v[36:37], v[36:37], v[76:77], v[82:83]
	v_fma_f64 v[38:39], v[38:39], v[76:77], -v[78:79]
	v_add_f64 v[70:71], v[42:43], -v[46:47]
	v_add_f64 v[58:59], v[40:41], v[44:45]
	v_add_f64 v[60:61], v[40:41], -v[44:45]
	v_fma_f64 v[56:57], v[56:57], -0.5, v[30:31]
	v_add_f64 v[30:31], v[30:31], v[42:43]
	v_add_f64 v[62:63], v[32:33], v[36:37]
	;; [unrolled: 1-line block ×3, first 2 shown]
	v_add_f64 v[74:75], v[34:35], -v[38:39]
	v_fma_f64 v[58:59], v[58:59], -0.5, v[28:29]
	v_add_f64 v[34:35], v[26:27], v[34:35]
	v_add_f64 v[28:29], v[28:29], v[40:41]
	v_fma_f64 v[72:73], v[60:61], s[6:7], v[56:57]
	v_fma_f64 v[56:57], v[60:61], s[4:5], v[56:57]
	v_add_f64 v[60:61], v[24:25], v[32:33]
	v_add_f64 v[32:33], v[32:33], -v[36:37]
	v_fma_f64 v[24:25], v[62:63], -0.5, v[24:25]
	v_fma_f64 v[26:27], v[68:69], -0.5, v[26:27]
	v_fma_f64 v[40:41], v[70:71], s[4:5], v[58:59]
	v_fma_f64 v[42:43], v[70:71], s[6:7], v[58:59]
	v_add_f64 v[34:35], v[34:35], v[38:39]
	v_add_f64 v[38:39], v[28:29], v[44:45]
	;; [unrolled: 1-line block ×3, first 2 shown]
	v_mul_f64 v[58:59], v[72:73], s[4:5]
	v_mul_f64 v[68:69], v[72:73], 0.5
	v_mul_f64 v[62:63], v[56:57], s[4:5]
	v_mul_f64 v[56:57], v[56:57], -0.5
	v_add_f64 v[36:37], v[60:61], v[36:37]
	v_fma_f64 v[46:47], v[74:75], s[4:5], v[24:25]
	v_fma_f64 v[70:71], v[32:33], s[6:7], v[26:27]
	;; [unrolled: 1-line block ×4, first 2 shown]
	v_mov_b32_e32 v24, 4
	v_add_f64 v[27:28], v[34:35], v[44:45]
	v_add_f64 v[31:32], v[34:35], -v[44:45]
	v_and_b32_e32 v45, 0xffff, v64
	v_mad_u32_u24 v45, 0x420, v45, 0
	v_fma_f64 v[58:59], v[40:41], 0.5, v[58:59]
	v_fma_f64 v[68:69], v[40:41], s[6:7], v[68:69]
	v_fma_f64 v[62:63], v[42:43], -0.5, v[62:63]
	v_fma_f64 v[74:75], v[42:43], s[6:7], v[56:57]
	v_add_f64 v[25:26], v[36:37], v[38:39]
	v_add_f64 v[29:30], v[36:37], -v[38:39]
	v_add_f64 v[33:34], v[46:47], v[58:59]
	v_add_f64 v[35:36], v[70:71], v[68:69]
	;; [unrolled: 1-line block ×4, first 2 shown]
	v_add_f64 v[41:42], v[46:47], -v[58:59]
	v_add_f64 v[43:44], v[70:71], -v[68:69]
	;; [unrolled: 1-line block ×4, first 2 shown]
	v_lshlrev_b32_sdwa v46, v24, v86 dst_sel:DWORD dst_unused:UNUSED_PAD src0_sel:DWORD src1_sel:BYTE_0
	v_add3_u32 v45, v45, v46, v53
	ds_write_b128 v45, v[25:28]
	ds_write_b128 v45, v[29:32] offset:528
	ds_write_b128 v45, v[33:36] offset:176
	;; [unrolled: 1-line block ×5, first 2 shown]
	s_and_saveexec_b32 s1, s0
	s_cbranch_execz .LBB0_17
; %bb.16:
	v_and_b32_e32 v25, 0xff, v52
	v_mul_lo_u16 v25, 0x75, v25
	v_lshrrev_b16 v25, 8, v25
	v_sub_nc_u16 v26, v52, v25
	v_lshrrev_b16 v26, 1, v26
	v_and_b32_e32 v26, 0x7f, v26
	v_add_nc_u16 v25, v26, v25
	v_lshrrev_b16 v47, 3, v25
	v_mul_lo_u16 v25, v47, 11
	v_sub_nc_u16 v59, v52, v25
	v_mul_u32_u24_sdwa v25, v59, v55 dst_sel:DWORD dst_unused:UNUSED_PAD src0_sel:BYTE_0 src1_sel:DWORD
	v_lshlrev_b32_sdwa v24, v24, v59 dst_sel:DWORD dst_unused:UNUSED_PAD src0_sel:DWORD src1_sel:BYTE_0
	v_lshlrev_b32_e32 v41, 4, v25
	s_clause 0x4
	global_load_dwordx4 v[25:28], v41, s[8:9] offset:32
	global_load_dwordx4 v[29:32], v41, s[8:9] offset:64
	global_load_dwordx4 v[33:36], v41, s[8:9]
	global_load_dwordx4 v[37:40], v41, s[8:9] offset:16
	global_load_dwordx4 v[41:44], v41, s[8:9] offset:48
	s_waitcnt vmcnt(4)
	v_mul_f64 v[45:46], v[12:13], v[27:28]
	s_waitcnt vmcnt(3)
	v_mul_f64 v[55:56], v[20:21], v[31:32]
	v_mul_f64 v[27:28], v[14:15], v[27:28]
	;; [unrolled: 1-line block ×3, first 2 shown]
	s_waitcnt vmcnt(2)
	v_mul_f64 v[57:58], v[4:5], v[35:36]
	v_mul_f64 v[35:36], v[6:7], v[35:36]
	v_fma_f64 v[14:15], v[14:15], v[25:26], -v[45:46]
	v_fma_f64 v[22:23], v[22:23], v[29:30], -v[55:56]
	s_waitcnt vmcnt(1)
	v_mul_f64 v[45:46], v[8:9], v[39:40]
	s_waitcnt vmcnt(0)
	v_mul_f64 v[55:56], v[16:17], v[43:44]
	v_fma_f64 v[12:13], v[12:13], v[25:26], v[27:28]
	v_fma_f64 v[20:21], v[20:21], v[29:30], v[31:32]
	v_fma_f64 v[6:7], v[6:7], v[33:34], -v[57:58]
	v_mul_f64 v[27:28], v[10:11], v[39:40]
	v_mul_f64 v[29:30], v[18:19], v[43:44]
	v_fma_f64 v[4:5], v[4:5], v[33:34], v[35:36]
	v_add_f64 v[25:26], v[14:15], v[22:23]
	v_fma_f64 v[10:11], v[10:11], v[37:38], -v[45:46]
	v_fma_f64 v[18:19], v[18:19], v[41:42], -v[55:56]
	v_add_f64 v[31:32], v[12:13], v[20:21]
	v_add_f64 v[33:34], v[12:13], -v[20:21]
	v_fma_f64 v[8:9], v[8:9], v[37:38], v[27:28]
	v_fma_f64 v[16:17], v[16:17], v[41:42], v[29:30]
	v_add_f64 v[29:30], v[14:15], -v[22:23]
	v_fma_f64 v[25:26], v[25:26], -0.5, v[6:7]
	v_add_f64 v[39:40], v[2:3], v[10:11]
	v_add_f64 v[27:28], v[10:11], v[18:19]
	;; [unrolled: 1-line block ×3, first 2 shown]
	v_fma_f64 v[31:32], v[31:32], -0.5, v[4:5]
	v_add_f64 v[4:5], v[4:5], v[12:13]
	v_add_f64 v[10:11], v[10:11], -v[18:19]
	v_add_f64 v[37:38], v[8:9], -v[16:17]
	v_fma_f64 v[35:36], v[33:34], s[4:5], v[25:26]
	v_fma_f64 v[25:26], v[33:34], s[6:7], v[25:26]
	v_add_f64 v[33:34], v[8:9], v[16:17]
	v_add_f64 v[8:9], v[0:1], v[8:9]
	v_fma_f64 v[2:3], v[27:28], -0.5, v[2:3]
	v_fma_f64 v[12:13], v[29:30], s[6:7], v[31:32]
	v_fma_f64 v[14:15], v[29:30], s[4:5], v[31:32]
	v_add_f64 v[18:19], v[39:40], v[18:19]
	v_add_f64 v[6:7], v[6:7], v[22:23]
	;; [unrolled: 1-line block ×3, first 2 shown]
	v_mul_f64 v[27:28], v[35:36], -0.5
	v_mul_f64 v[29:30], v[25:26], 0.5
	v_fma_f64 v[0:1], v[33:34], -0.5, v[0:1]
	v_mul_f64 v[25:26], v[25:26], s[4:5]
	v_mul_f64 v[31:32], v[35:36], s[4:5]
	v_add_f64 v[8:9], v[8:9], v[16:17]
	v_fma_f64 v[16:17], v[37:38], s[4:5], v[2:3]
	v_fma_f64 v[20:21], v[37:38], s[6:7], v[2:3]
	v_add_f64 v[2:3], v[18:19], -v[6:7]
	v_add_f64 v[6:7], v[18:19], v[6:7]
	v_fma_f64 v[22:23], v[12:13], s[6:7], v[27:28]
	v_fma_f64 v[27:28], v[14:15], s[6:7], v[29:30]
	;; [unrolled: 1-line block ×3, first 2 shown]
	v_fma_f64 v[25:26], v[14:15], 0.5, v[25:26]
	v_fma_f64 v[29:30], v[10:11], s[6:7], v[0:1]
	v_fma_f64 v[31:32], v[12:13], -0.5, v[31:32]
	v_add_f64 v[0:1], v[8:9], -v[4:5]
	v_add_f64 v[4:5], v[8:9], v[4:5]
	v_add_f64 v[10:11], v[16:17], -v[22:23]
	v_add_f64 v[14:15], v[20:21], -v[27:28]
	v_add_f64 v[18:19], v[16:17], v[22:23]
	v_add_f64 v[22:23], v[20:21], v[27:28]
	;; [unrolled: 1-line block ×4, first 2 shown]
	v_add_f64 v[12:13], v[33:34], -v[25:26]
	v_add_f64 v[8:9], v[29:30], -v[31:32]
	v_and_b32_e32 v25, 0xffff, v47
	v_mad_u32_u24 v25, 0x420, v25, 0
	v_add3_u32 v24, v25, v24, v53
	ds_write_b128 v24, v[4:7]
	ds_write_b128 v24, v[0:3] offset:528
	ds_write_b128 v24, v[20:23] offset:176
	;; [unrolled: 1-line block ×5, first 2 shown]
.LBB0_17:
	s_or_b32 exec_lo, exec_lo, s1
	v_mul_u32_u24_e32 v0, 10, v48
	s_waitcnt lgkmcnt(0)
	s_barrier
	buffer_gl0_inv
	v_add3_u32 v4, 0, v54, v53
	v_lshlrev_b32_e32 v0, 4, v0
	s_mov_b32 s0, 0xf8bb580b
	s_mov_b32 s6, 0x8764f0ba
	;; [unrolled: 1-line block ×4, first 2 shown]
	s_clause 0x9
	global_load_dwordx4 v[6:9], v0, s[8:9] offset:880
	global_load_dwordx4 v[10:13], v0, s[8:9] offset:1024
	;; [unrolled: 1-line block ×10, first 2 shown]
	ds_read_b128 v[0:3], v65
	ds_read_b128 v[59:62], v49 offset:2112
	ds_read_b128 v[68:71], v49 offset:9504
	;; [unrolled: 1-line block ×9, first 2 shown]
	ds_read_b128 v[44:47], v4
	s_mov_b32 s10, 0x8eee2c13
	s_mov_b32 s11, 0xbfed1bb4
	;; [unrolled: 1-line block ×24, first 2 shown]
	s_waitcnt vmcnt(0) lgkmcnt(0)
	s_barrier
	buffer_gl0_inv
	v_mul_f64 v[4:5], v[44:45], v[8:9]
	v_mul_f64 v[34:35], v[72:73], v[12:13]
	;; [unrolled: 1-line block ×20, first 2 shown]
	v_fma_f64 v[114:115], v[46:47], v[6:7], -v[4:5]
	v_fma_f64 v[4:5], v[74:75], v[10:11], -v[34:35]
	v_fma_f64 v[74:75], v[44:45], v[6:7], v[8:9]
	v_fma_f64 v[44:45], v[61:62], v[14:15], -v[53:54]
	v_fma_f64 v[8:9], v[70:71], v[18:19], -v[63:64]
	v_fma_f64 v[6:7], v[72:73], v[10:11], v[12:13]
	v_fma_f64 v[46:47], v[59:60], v[14:15], v[16:17]
	;; [unrolled: 1-line block ×4, first 2 shown]
	v_fma_f64 v[34:35], v[78:79], v[22:23], -v[24:25]
	v_fma_f64 v[12:13], v[98:99], v[26:27], -v[102:103]
	v_fma_f64 v[14:15], v[96:97], v[26:27], v[28:29]
	v_fma_f64 v[16:17], v[94:95], v[36:37], -v[108:109]
	v_fma_f64 v[18:19], v[92:93], v[36:37], v[38:39]
	;; [unrolled: 2-line block ×3, first 2 shown]
	v_fma_f64 v[28:29], v[80:81], v[30:31], v[104:105]
	v_fma_f64 v[30:31], v[82:83], v[30:31], -v[106:107]
	v_fma_f64 v[24:25], v[84:85], v[40:41], v[110:111]
	v_fma_f64 v[26:27], v[86:87], v[40:41], -v[42:43]
	v_add_f64 v[63:64], v[2:3], v[114:115]
	v_add_f64 v[59:60], v[114:115], -v[4:5]
	v_add_f64 v[61:62], v[0:1], v[74:75]
	v_add_f64 v[57:58], v[114:115], v[4:5]
	v_add_f64 v[55:56], v[44:45], -v[8:9]
	v_add_f64 v[53:54], v[44:45], v[8:9]
	v_add_f64 v[40:41], v[74:75], v[6:7]
	;; [unrolled: 1-line block ×3, first 2 shown]
	v_add_f64 v[36:37], v[46:47], -v[10:11]
	v_add_f64 v[42:43], v[74:75], -v[6:7]
	v_add_f64 v[68:69], v[34:35], -v[12:13]
	v_add_f64 v[70:71], v[32:33], v[14:15]
	v_add_f64 v[72:73], v[34:35], v[12:13]
	v_add_f64 v[74:75], v[32:33], -v[14:15]
	v_add_f64 v[78:79], v[28:29], v[18:19]
	v_add_f64 v[76:77], v[30:31], -v[16:17]
	;; [unrolled: 2-line block ×4, first 2 shown]
	v_add_f64 v[44:45], v[63:64], v[44:45]
	v_mul_f64 v[92:93], v[59:60], s[0:1]
	v_add_f64 v[46:47], v[61:62], v[46:47]
	v_mul_f64 v[94:95], v[57:58], s[6:7]
	v_mul_f64 v[61:62], v[59:60], s[10:11]
	;; [unrolled: 1-line block ×11, first 2 shown]
	v_add_f64 v[86:87], v[24:25], v[22:23]
	v_add_f64 v[90:91], v[24:25], -v[22:23]
	v_mul_f64 v[108:109], v[55:56], s[22:23]
	v_mul_f64 v[110:111], v[53:54], s[24:25]
	;; [unrolled: 1-line block ×6, first 2 shown]
	v_add_f64 v[34:35], v[44:45], v[34:35]
	v_fma_f64 v[168:169], v[40:41], s[6:7], v[92:93]
	v_add_f64 v[32:33], v[46:47], v[32:33]
	v_fma_f64 v[170:171], v[42:43], s[4:5], v[94:95]
	v_mul_f64 v[55:56], v[55:56], s[4:5]
	v_mul_f64 v[53:54], v[53:54], s[6:7]
	;; [unrolled: 1-line block ×18, first 2 shown]
	v_add_f64 v[30:31], v[34:35], v[30:31]
	v_mul_f64 v[146:147], v[80:81], s[18:19]
	v_add_f64 v[28:29], v[32:33], v[28:29]
	v_mul_f64 v[148:149], v[80:81], s[6:7]
	v_mul_f64 v[150:151], v[80:81], s[34:35]
	;; [unrolled: 1-line block ×13, first 2 shown]
	v_fma_f64 v[92:93], v[40:41], s[6:7], -v[92:93]
	v_fma_f64 v[94:95], v[42:43], s[0:1], v[94:95]
	v_fma_f64 v[172:173], v[40:41], s[14:15], v[61:62]
	;; [unrolled: 1-line block ×3, first 2 shown]
	v_fma_f64 v[61:62], v[40:41], s[14:15], -v[61:62]
	v_fma_f64 v[176:177], v[40:41], s[18:19], v[96:97]
	v_fma_f64 v[178:179], v[42:43], s[20:21], v[98:99]
	v_fma_f64 v[96:97], v[40:41], s[18:19], -v[96:97]
	v_fma_f64 v[180:181], v[40:41], s[24:25], v[100:101]
	v_fma_f64 v[182:183], v[42:43], s[26:27], v[102:103]
	;; [unrolled: 1-line block ×6, first 2 shown]
	v_fma_f64 v[100:101], v[40:41], s[24:25], -v[100:101]
	v_fma_f64 v[102:103], v[42:43], s[22:23], v[102:103]
	v_fma_f64 v[40:41], v[40:41], s[34:35], -v[59:60]
	v_fma_f64 v[42:43], v[42:43], s[28:29], v[57:58]
	v_add_f64 v[24:25], v[28:29], v[24:25]
	v_add_f64 v[26:27], v[30:31], v[26:27]
	v_fma_f64 v[57:58], v[38:39], s[14:15], v[104:105]
	v_fma_f64 v[59:60], v[36:37], s[12:13], v[106:107]
	v_add_f64 v[28:29], v[0:1], v[168:169]
	v_add_f64 v[30:31], v[2:3], v[170:171]
	v_fma_f64 v[104:105], v[38:39], s[14:15], -v[104:105]
	v_fma_f64 v[106:107], v[36:37], s[10:11], v[106:107]
	v_fma_f64 v[188:189], v[38:39], s[24:25], v[108:109]
	v_fma_f64 v[190:191], v[36:37], s[26:27], v[110:111]
	v_fma_f64 v[108:109], v[38:39], s[24:25], -v[108:109]
	v_fma_f64 v[110:111], v[36:37], s[22:23], v[110:111]
	v_fma_f64 v[192:193], v[38:39], s[34:35], v[112:113]
	v_fma_f64 v[194:195], v[36:37], s[28:29], v[114:115]
	;; [unrolled: 4-line block ×3, first 2 shown]
	v_fma_f64 v[116:117], v[38:39], s[18:19], -v[116:117]
	v_fma_f64 v[118:119], v[36:37], s[20:21], v[118:119]
	v_fma_f64 v[200:201], v[38:39], s[6:7], v[55:56]
	v_fma_f64 v[38:39], v[38:39], s[6:7], -v[55:56]
	v_fma_f64 v[55:56], v[36:37], s[0:1], v[53:54]
	v_fma_f64 v[36:37], v[36:37], s[4:5], v[53:54]
	v_fma_f64 v[53:54], v[70:71], s[18:19], v[120:121]
	v_fma_f64 v[120:121], v[70:71], s[18:19], -v[120:121]
	v_fma_f64 v[202:203], v[70:71], s[34:35], v[122:123]
	v_fma_f64 v[122:123], v[70:71], s[34:35], -v[122:123]
	v_fma_f64 v[204:205], v[70:71], s[14:15], v[124:125]
	v_fma_f64 v[124:125], v[70:71], s[14:15], -v[124:125]
	v_fma_f64 v[206:207], v[70:71], s[6:7], v[126:127]
	v_fma_f64 v[126:127], v[70:71], s[6:7], -v[126:127]
	v_fma_f64 v[208:209], v[70:71], s[24:25], v[68:69]
	v_fma_f64 v[68:69], v[70:71], s[24:25], -v[68:69]
	v_fma_f64 v[44:45], v[74:75], s[20:21], v[128:129]
	v_fma_f64 v[46:47], v[74:75], s[16:17], v[128:129]
	v_fma_f64 v[70:71], v[74:75], s[28:29], v[130:131]
	v_fma_f64 v[128:129], v[74:75], s[30:31], v[130:131]
	v_fma_f64 v[130:131], v[74:75], s[10:11], v[132:133]
	v_fma_f64 v[132:133], v[74:75], s[12:13], v[132:133]
	v_fma_f64 v[210:211], v[74:75], s[4:5], v[134:135]
	v_fma_f64 v[134:135], v[74:75], s[0:1], v[134:135]
	v_fma_f64 v[212:213], v[74:75], s[26:27], v[72:73]
	v_fma_f64 v[72:73], v[74:75], s[22:23], v[72:73]
	v_fma_f64 v[74:75], v[78:79], s[24:25], v[136:137]
	v_fma_f64 v[136:137], v[78:79], s[24:25], -v[136:137]
	v_fma_f64 v[214:215], v[78:79], s[18:19], v[138:139]
	v_fma_f64 v[138:139], v[78:79], s[18:19], -v[138:139]
	v_fma_f64 v[216:217], v[78:79], s[6:7], v[140:141]
	v_fma_f64 v[140:141], v[78:79], s[6:7], -v[140:141]
	v_fma_f64 v[218:219], v[78:79], s[34:35], v[142:143]
	v_fma_f64 v[142:143], v[78:79], s[34:35], -v[142:143]
	v_fma_f64 v[220:221], v[78:79], s[14:15], v[76:77]
	v_fma_f64 v[76:77], v[78:79], s[14:15], -v[76:77]
	v_fma_f64 v[78:79], v[82:83], s[26:27], v[144:145]
	v_fma_f64 v[144:145], v[82:83], s[22:23], v[144:145]
	v_fma_f64 v[222:223], v[82:83], s[16:17], v[146:147]
	v_fma_f64 v[146:147], v[82:83], s[20:21], v[146:147]
	v_fma_f64 v[224:225], v[82:83], s[4:5], v[148:149]
	v_fma_f64 v[148:149], v[82:83], s[0:1], v[148:149]
	v_fma_f64 v[226:227], v[82:83], s[30:31], v[150:151]
	v_fma_f64 v[150:151], v[82:83], s[28:29], v[150:151]
	;; [unrolled: 20-line block ×3, first 2 shown]
	v_fma_f64 v[240:241], v[90:91], s[20:21], v[88:89]
	v_fma_f64 v[88:89], v[90:91], s[16:17], v[88:89]
	v_add_f64 v[90:91], v[0:1], v[92:93]
	v_add_f64 v[92:93], v[2:3], v[94:95]
	;; [unrolled: 1-line block ×108, first 2 shown]
	ds_write_b128 v49, v[0:3] offset:1056
	ds_write_b128 v49, v[12:15] offset:2112
	;; [unrolled: 1-line block ×10, first 2 shown]
	ds_write_b128 v49, v[44:47]
	s_waitcnt lgkmcnt(0)
	s_barrier
	buffer_gl0_inv
	ds_read_b128 v[4:7], v65
	v_sub_nc_u32_e32 v10, v66, v67
	s_add_u32 s1, s8, 0x2cb0
	s_addc_u32 s4, s9, 0
	s_mov_b32 s5, exec_lo
                                        ; implicit-def: $vgpr2_vgpr3
                                        ; implicit-def: $vgpr8_vgpr9
	v_cmpx_ne_u32_e32 0, v48
	s_xor_b32 s5, exec_lo, s5
	s_cbranch_execz .LBB0_19
; %bb.18:
	v_mov_b32_e32 v49, 0
	v_lshlrev_b64 v[0:1], 4, v[48:49]
	v_add_co_u32 v0, s0, s1, v0
	v_add_co_ci_u32_e64 v1, s0, s4, v1, s0
	global_load_dwordx4 v[11:14], v[0:1], off
	ds_read_b128 v[0:3], v10 offset:11616
	s_waitcnt lgkmcnt(0)
	v_add_f64 v[8:9], v[4:5], -v[0:1]
	v_add_f64 v[15:16], v[6:7], v[2:3]
	v_add_f64 v[2:3], v[6:7], -v[2:3]
	v_add_f64 v[0:1], v[4:5], v[0:1]
	v_mul_f64 v[6:7], v[8:9], 0.5
	v_mul_f64 v[4:5], v[15:16], 0.5
	;; [unrolled: 1-line block ×3, first 2 shown]
	s_waitcnt vmcnt(0)
	v_mul_f64 v[8:9], v[6:7], v[13:14]
	v_fma_f64 v[15:16], v[4:5], v[13:14], v[2:3]
	v_fma_f64 v[2:3], v[4:5], v[13:14], -v[2:3]
	v_fma_f64 v[17:18], v[0:1], 0.5, v[8:9]
	v_fma_f64 v[0:1], v[0:1], 0.5, -v[8:9]
	v_fma_f64 v[8:9], -v[11:12], v[6:7], v[15:16]
	v_fma_f64 v[2:3], -v[11:12], v[6:7], v[2:3]
	v_fma_f64 v[13:14], v[4:5], v[11:12], v[17:18]
	v_fma_f64 v[0:1], -v[4:5], v[11:12], v[0:1]
                                        ; implicit-def: $vgpr4_vgpr5
	ds_write_b64 v65, v[13:14]
.LBB0_19:
	s_andn2_saveexec_b32 s0, s5
	s_cbranch_execz .LBB0_21
; %bb.20:
	ds_read_b64 v[11:12], v66 offset:5816
	s_waitcnt lgkmcnt(1)
	v_add_f64 v[13:14], v[4:5], v[6:7]
	v_add_f64 v[0:1], v[4:5], -v[6:7]
	v_mov_b32_e32 v8, 0
	v_mov_b32_e32 v9, 0
	;; [unrolled: 1-line block ×4, first 2 shown]
	s_waitcnt lgkmcnt(0)
	v_xor_b32_e32 v12, 0x80000000, v12
	ds_write_b64 v65, v[13:14]
	ds_write_b64 v66, v[11:12] offset:5816
.LBB0_21:
	s_or_b32 exec_lo, exec_lo, s0
	v_mov_b32_e32 v53, 0
	v_lshl_add_u32 v27, v52, 4, v66
	ds_write_b64 v65, v[8:9] offset:8
	ds_write_b128 v10, v[0:3] offset:11616
	s_mov_b32 s5, exec_lo
	s_waitcnt lgkmcnt(2)
	v_lshlrev_b64 v[4:5], 4, v[52:53]
	v_add_nc_u32_e32 v52, 0x84, v48
	v_lshlrev_b64 v[11:12], 4, v[52:53]
	v_add_co_u32 v4, s0, s1, v4
	v_add_co_ci_u32_e64 v5, s0, s4, v5, s0
	v_add_nc_u32_e32 v52, 0xc6, v48
	v_add_co_u32 v11, s0, s1, v11
	global_load_dwordx4 v[4:7], v[4:5], off
	v_add_co_ci_u32_e64 v12, s0, s4, v12, s0
	v_lshlrev_b64 v[8:9], 4, v[52:53]
	v_add_nc_u32_e32 v52, 0x108, v48
	global_load_dwordx4 v[11:14], v[11:12], off
	ds_read_b128 v[0:3], v27
	ds_read_b128 v[15:18], v10 offset:10560
	v_add_co_u32 v8, s0, s1, v8
	v_add_co_ci_u32_e64 v9, s0, s4, v9, s0
	global_load_dwordx4 v[19:22], v[8:9], off
	s_waitcnt lgkmcnt(0)
	v_add_f64 v[8:9], v[0:1], -v[15:16]
	v_add_f64 v[23:24], v[2:3], v[17:18]
	v_add_f64 v[2:3], v[2:3], -v[17:18]
	v_add_f64 v[0:1], v[0:1], v[15:16]
	v_mul_f64 v[8:9], v[8:9], 0.5
	v_mul_f64 v[17:18], v[23:24], 0.5
	;; [unrolled: 1-line block ×3, first 2 shown]
	s_waitcnt vmcnt(2)
	v_mul_f64 v[15:16], v[8:9], v[6:7]
	v_fma_f64 v[23:24], v[17:18], v[6:7], v[2:3]
	v_fma_f64 v[6:7], v[17:18], v[6:7], -v[2:3]
	v_fma_f64 v[25:26], v[0:1], 0.5, v[15:16]
	v_fma_f64 v[15:16], v[0:1], 0.5, -v[15:16]
	v_fma_f64 v[2:3], -v[4:5], v[8:9], v[23:24]
	v_fma_f64 v[6:7], -v[4:5], v[8:9], v[6:7]
	v_lshlrev_b64 v[8:9], 4, v[52:53]
	v_add_co_u32 v8, s0, s1, v8
	v_add_co_ci_u32_e64 v9, s0, s4, v9, s0
	v_fma_f64 v[0:1], v[17:18], v[4:5], v[25:26]
	v_fma_f64 v[4:5], -v[17:18], v[4:5], v[15:16]
	ds_write_b128 v27, v[0:3]
	ds_write_b128 v10, v[4:7] offset:10560
	ds_read_b128 v[0:3], v65 offset:2112
	ds_read_b128 v[4:7], v10 offset:9504
	global_load_dwordx4 v[15:18], v[8:9], off
	s_waitcnt lgkmcnt(0)
	v_add_f64 v[8:9], v[0:1], -v[4:5]
	v_add_f64 v[23:24], v[2:3], v[6:7]
	v_add_f64 v[2:3], v[2:3], -v[6:7]
	v_add_f64 v[0:1], v[0:1], v[4:5]
	v_mul_f64 v[6:7], v[8:9], 0.5
	v_mul_f64 v[8:9], v[23:24], 0.5
	;; [unrolled: 1-line block ×3, first 2 shown]
	s_waitcnt vmcnt(2)
	v_mul_f64 v[4:5], v[6:7], v[13:14]
	v_fma_f64 v[23:24], v[8:9], v[13:14], v[2:3]
	v_fma_f64 v[13:14], v[8:9], v[13:14], -v[2:3]
	v_fma_f64 v[25:26], v[0:1], 0.5, v[4:5]
	v_fma_f64 v[4:5], v[0:1], 0.5, -v[4:5]
	v_fma_f64 v[2:3], -v[11:12], v[6:7], v[23:24]
	v_fma_f64 v[6:7], -v[11:12], v[6:7], v[13:14]
	v_fma_f64 v[0:1], v[8:9], v[11:12], v[25:26]
	v_fma_f64 v[4:5], -v[8:9], v[11:12], v[4:5]
	ds_write_b128 v65, v[0:3] offset:2112
	ds_write_b128 v10, v[4:7] offset:9504
	ds_read_b128 v[0:3], v65 offset:3168
	ds_read_b128 v[4:7], v10 offset:8448
	s_waitcnt lgkmcnt(0)
	v_add_f64 v[8:9], v[0:1], -v[4:5]
	v_add_f64 v[11:12], v[2:3], v[6:7]
	v_add_f64 v[2:3], v[2:3], -v[6:7]
	v_add_f64 v[0:1], v[0:1], v[4:5]
	v_mul_f64 v[6:7], v[8:9], 0.5
	v_mul_f64 v[8:9], v[11:12], 0.5
	;; [unrolled: 1-line block ×3, first 2 shown]
	s_waitcnt vmcnt(1)
	v_mul_f64 v[4:5], v[6:7], v[21:22]
	v_fma_f64 v[11:12], v[8:9], v[21:22], v[2:3]
	v_fma_f64 v[13:14], v[8:9], v[21:22], -v[2:3]
	v_fma_f64 v[21:22], v[0:1], 0.5, v[4:5]
	v_fma_f64 v[4:5], v[0:1], 0.5, -v[4:5]
	v_fma_f64 v[2:3], -v[19:20], v[6:7], v[11:12]
	v_fma_f64 v[6:7], -v[19:20], v[6:7], v[13:14]
	v_fma_f64 v[0:1], v[8:9], v[19:20], v[21:22]
	v_fma_f64 v[4:5], -v[8:9], v[19:20], v[4:5]
	ds_write_b128 v65, v[0:3] offset:3168
	ds_write_b128 v10, v[4:7] offset:8448
	ds_read_b128 v[0:3], v65 offset:4224
	ds_read_b128 v[4:7], v10 offset:7392
	s_waitcnt lgkmcnt(0)
	v_add_f64 v[8:9], v[0:1], -v[4:5]
	v_add_f64 v[11:12], v[2:3], v[6:7]
	v_add_f64 v[2:3], v[2:3], -v[6:7]
	v_add_f64 v[0:1], v[0:1], v[4:5]
	v_mul_f64 v[6:7], v[8:9], 0.5
	v_mul_f64 v[8:9], v[11:12], 0.5
	;; [unrolled: 1-line block ×3, first 2 shown]
	s_waitcnt vmcnt(0)
	v_mul_f64 v[4:5], v[6:7], v[17:18]
	v_fma_f64 v[11:12], v[8:9], v[17:18], v[2:3]
	v_fma_f64 v[13:14], v[8:9], v[17:18], -v[2:3]
	v_fma_f64 v[17:18], v[0:1], 0.5, v[4:5]
	v_fma_f64 v[4:5], v[0:1], 0.5, -v[4:5]
	v_fma_f64 v[2:3], -v[15:16], v[6:7], v[11:12]
	v_fma_f64 v[6:7], -v[15:16], v[6:7], v[13:14]
	v_fma_f64 v[0:1], v[8:9], v[15:16], v[17:18]
	v_fma_f64 v[4:5], -v[8:9], v[15:16], v[4:5]
	ds_write_b128 v65, v[0:3] offset:4224
	ds_write_b128 v10, v[4:7] offset:7392
	v_cmpx_gt_u32_e32 33, v48
	s_cbranch_execz .LBB0_23
; %bb.22:
	v_add_nc_u32_e32 v52, 0x14a, v48
	v_lshlrev_b64 v[0:1], 4, v[52:53]
	v_add_co_u32 v0, s0, s1, v0
	v_add_co_ci_u32_e64 v1, s0, s4, v1, s0
	global_load_dwordx4 v[0:3], v[0:1], off
	ds_read_b128 v[4:7], v65 offset:5280
	ds_read_b128 v[11:14], v10 offset:6336
	s_waitcnt lgkmcnt(0)
	v_add_f64 v[8:9], v[4:5], -v[11:12]
	v_add_f64 v[15:16], v[6:7], v[13:14]
	v_add_f64 v[6:7], v[6:7], -v[13:14]
	v_add_f64 v[4:5], v[4:5], v[11:12]
	v_mul_f64 v[8:9], v[8:9], 0.5
	v_mul_f64 v[13:14], v[15:16], 0.5
	v_mul_f64 v[6:7], v[6:7], 0.5
	s_waitcnt vmcnt(0)
	v_mul_f64 v[11:12], v[8:9], v[2:3]
	v_fma_f64 v[15:16], v[13:14], v[2:3], v[6:7]
	v_fma_f64 v[2:3], v[13:14], v[2:3], -v[6:7]
	v_fma_f64 v[6:7], v[4:5], 0.5, v[11:12]
	v_fma_f64 v[11:12], v[4:5], 0.5, -v[11:12]
	v_fma_f64 v[4:5], -v[0:1], v[8:9], v[15:16]
	v_fma_f64 v[8:9], -v[0:1], v[8:9], v[2:3]
	v_fma_f64 v[2:3], v[13:14], v[0:1], v[6:7]
	v_fma_f64 v[6:7], -v[13:14], v[0:1], v[11:12]
	ds_write_b128 v65, v[2:5] offset:5280
	ds_write_b128 v10, v[6:9] offset:6336
.LBB0_23:
	s_or_b32 exec_lo, exec_lo, s5
	s_waitcnt lgkmcnt(0)
	s_barrier
	buffer_gl0_inv
	s_and_saveexec_b32 s0, vcc_lo
	s_cbranch_execz .LBB0_26
; %bb.24:
	v_mov_b32_e32 v49, 0
	ds_read_b128 v[2:5], v65
	ds_read_b128 v[6:9], v65 offset:1056
	v_add_co_u32 v0, vcc_lo, s2, v50
	v_add_co_ci_u32_e32 v1, vcc_lo, s3, v51, vcc_lo
	v_lshlrev_b64 v[10:11], 4, v[48:49]
	v_add_co_u32 v38, vcc_lo, v0, v10
	v_add_co_ci_u32_e32 v39, vcc_lo, v1, v11, vcc_lo
	ds_read_b128 v[10:13], v65 offset:2112
	ds_read_b128 v[14:17], v65 offset:3168
	;; [unrolled: 1-line block ×5, first 2 shown]
	v_add_co_u32 v40, vcc_lo, 0x800, v38
	v_add_co_ci_u32_e32 v41, vcc_lo, 0, v39, vcc_lo
	s_waitcnt lgkmcnt(6)
	global_store_dwordx4 v[38:39], v[2:5], off
	s_waitcnt lgkmcnt(5)
	global_store_dwordx4 v[38:39], v[6:9], off offset:1056
	ds_read_b128 v[2:5], v65 offset:7392
	ds_read_b128 v[6:9], v65 offset:8448
	;; [unrolled: 1-line block ×4, first 2 shown]
	v_add_co_u32 v42, vcc_lo, 0x1000, v38
	v_add_co_ci_u32_e32 v43, vcc_lo, 0, v39, vcc_lo
	v_add_co_u32 v44, vcc_lo, 0x1800, v38
	v_add_co_ci_u32_e32 v45, vcc_lo, 0, v39, vcc_lo
	s_waitcnt lgkmcnt(8)
	global_store_dwordx4 v[40:41], v[10:13], off offset:64
	s_waitcnt lgkmcnt(7)
	global_store_dwordx4 v[40:41], v[14:17], off offset:1120
	;; [unrolled: 2-line block ×5, first 2 shown]
	v_add_co_u32 v10, vcc_lo, 0x2000, v38
	v_add_co_ci_u32_e32 v11, vcc_lo, 0, v39, vcc_lo
	v_add_co_u32 v12, vcc_lo, 0x2800, v38
	v_add_co_ci_u32_e32 v13, vcc_lo, 0, v39, vcc_lo
	v_cmp_eq_u32_e32 vcc_lo, 0x41, v48
	s_waitcnt lgkmcnt(3)
	global_store_dwordx4 v[44:45], v[2:5], off offset:1248
	s_waitcnt lgkmcnt(2)
	global_store_dwordx4 v[10:11], v[6:9], off offset:256
	s_waitcnt lgkmcnt(1)
	global_store_dwordx4 v[10:11], v[30:33], off offset:1312
	s_waitcnt lgkmcnt(0)
	global_store_dwordx4 v[12:13], v[34:37], off offset:320
	s_and_b32 exec_lo, exec_lo, vcc_lo
	s_cbranch_execz .LBB0_26
; %bb.25:
	ds_read_b128 v[2:5], v65 offset:10576
	v_add_co_u32 v0, vcc_lo, 0x2800, v0
	v_add_co_ci_u32_e32 v1, vcc_lo, 0, v1, vcc_lo
	s_waitcnt lgkmcnt(0)
	global_store_dwordx4 v[0:1], v[2:5], off offset:1376
.LBB0_26:
	s_endpgm
	.section	.rodata,"a",@progbits
	.p2align	6, 0x0
	.amdhsa_kernel fft_rtc_back_len726_factors_11_6_11_wgs_132_tpt_66_dp_ip_CI_unitstride_sbrr_R2C_dirReg
		.amdhsa_group_segment_fixed_size 0
		.amdhsa_private_segment_fixed_size 0
		.amdhsa_kernarg_size 88
		.amdhsa_user_sgpr_count 6
		.amdhsa_user_sgpr_private_segment_buffer 1
		.amdhsa_user_sgpr_dispatch_ptr 0
		.amdhsa_user_sgpr_queue_ptr 0
		.amdhsa_user_sgpr_kernarg_segment_ptr 1
		.amdhsa_user_sgpr_dispatch_id 0
		.amdhsa_user_sgpr_flat_scratch_init 0
		.amdhsa_user_sgpr_private_segment_size 0
		.amdhsa_wavefront_size32 1
		.amdhsa_uses_dynamic_stack 0
		.amdhsa_system_sgpr_private_segment_wavefront_offset 0
		.amdhsa_system_sgpr_workgroup_id_x 1
		.amdhsa_system_sgpr_workgroup_id_y 0
		.amdhsa_system_sgpr_workgroup_id_z 0
		.amdhsa_system_sgpr_workgroup_info 0
		.amdhsa_system_vgpr_workitem_id 0
		.amdhsa_next_free_vgpr 242
		.amdhsa_next_free_sgpr 36
		.amdhsa_reserve_vcc 1
		.amdhsa_reserve_flat_scratch 0
		.amdhsa_float_round_mode_32 0
		.amdhsa_float_round_mode_16_64 0
		.amdhsa_float_denorm_mode_32 3
		.amdhsa_float_denorm_mode_16_64 3
		.amdhsa_dx10_clamp 1
		.amdhsa_ieee_mode 1
		.amdhsa_fp16_overflow 0
		.amdhsa_workgroup_processor_mode 1
		.amdhsa_memory_ordered 1
		.amdhsa_forward_progress 0
		.amdhsa_shared_vgpr_count 0
		.amdhsa_exception_fp_ieee_invalid_op 0
		.amdhsa_exception_fp_denorm_src 0
		.amdhsa_exception_fp_ieee_div_zero 0
		.amdhsa_exception_fp_ieee_overflow 0
		.amdhsa_exception_fp_ieee_underflow 0
		.amdhsa_exception_fp_ieee_inexact 0
		.amdhsa_exception_int_div_zero 0
	.end_amdhsa_kernel
	.text
.Lfunc_end0:
	.size	fft_rtc_back_len726_factors_11_6_11_wgs_132_tpt_66_dp_ip_CI_unitstride_sbrr_R2C_dirReg, .Lfunc_end0-fft_rtc_back_len726_factors_11_6_11_wgs_132_tpt_66_dp_ip_CI_unitstride_sbrr_R2C_dirReg
                                        ; -- End function
	.section	.AMDGPU.csdata,"",@progbits
; Kernel info:
; codeLenInByte = 11128
; NumSgprs: 38
; NumVgprs: 242
; ScratchSize: 0
; MemoryBound: 0
; FloatMode: 240
; IeeeMode: 1
; LDSByteSize: 0 bytes/workgroup (compile time only)
; SGPRBlocks: 4
; VGPRBlocks: 30
; NumSGPRsForWavesPerEU: 38
; NumVGPRsForWavesPerEU: 242
; Occupancy: 4
; WaveLimiterHint : 1
; COMPUTE_PGM_RSRC2:SCRATCH_EN: 0
; COMPUTE_PGM_RSRC2:USER_SGPR: 6
; COMPUTE_PGM_RSRC2:TRAP_HANDLER: 0
; COMPUTE_PGM_RSRC2:TGID_X_EN: 1
; COMPUTE_PGM_RSRC2:TGID_Y_EN: 0
; COMPUTE_PGM_RSRC2:TGID_Z_EN: 0
; COMPUTE_PGM_RSRC2:TIDIG_COMP_CNT: 0
	.text
	.p2alignl 6, 3214868480
	.fill 48, 4, 3214868480
	.type	__hip_cuid_4cafe2298307dd00,@object ; @__hip_cuid_4cafe2298307dd00
	.section	.bss,"aw",@nobits
	.globl	__hip_cuid_4cafe2298307dd00
__hip_cuid_4cafe2298307dd00:
	.byte	0                               ; 0x0
	.size	__hip_cuid_4cafe2298307dd00, 1

	.ident	"AMD clang version 19.0.0git (https://github.com/RadeonOpenCompute/llvm-project roc-6.4.0 25133 c7fe45cf4b819c5991fe208aaa96edf142730f1d)"
	.section	".note.GNU-stack","",@progbits
	.addrsig
	.addrsig_sym __hip_cuid_4cafe2298307dd00
	.amdgpu_metadata
---
amdhsa.kernels:
  - .args:
      - .actual_access:  read_only
        .address_space:  global
        .offset:         0
        .size:           8
        .value_kind:     global_buffer
      - .offset:         8
        .size:           8
        .value_kind:     by_value
      - .actual_access:  read_only
        .address_space:  global
        .offset:         16
        .size:           8
        .value_kind:     global_buffer
      - .actual_access:  read_only
        .address_space:  global
        .offset:         24
        .size:           8
        .value_kind:     global_buffer
      - .offset:         32
        .size:           8
        .value_kind:     by_value
      - .actual_access:  read_only
        .address_space:  global
        .offset:         40
        .size:           8
        .value_kind:     global_buffer
      - .actual_access:  read_only
        .address_space:  global
        .offset:         48
        .size:           8
        .value_kind:     global_buffer
      - .offset:         56
        .size:           4
        .value_kind:     by_value
      - .actual_access:  read_only
        .address_space:  global
        .offset:         64
        .size:           8
        .value_kind:     global_buffer
      - .actual_access:  read_only
        .address_space:  global
        .offset:         72
        .size:           8
        .value_kind:     global_buffer
      - .address_space:  global
        .offset:         80
        .size:           8
        .value_kind:     global_buffer
    .group_segment_fixed_size: 0
    .kernarg_segment_align: 8
    .kernarg_segment_size: 88
    .language:       OpenCL C
    .language_version:
      - 2
      - 0
    .max_flat_workgroup_size: 132
    .name:           fft_rtc_back_len726_factors_11_6_11_wgs_132_tpt_66_dp_ip_CI_unitstride_sbrr_R2C_dirReg
    .private_segment_fixed_size: 0
    .sgpr_count:     38
    .sgpr_spill_count: 0
    .symbol:         fft_rtc_back_len726_factors_11_6_11_wgs_132_tpt_66_dp_ip_CI_unitstride_sbrr_R2C_dirReg.kd
    .uniform_work_group_size: 1
    .uses_dynamic_stack: false
    .vgpr_count:     242
    .vgpr_spill_count: 0
    .wavefront_size: 32
    .workgroup_processor_mode: 1
amdhsa.target:   amdgcn-amd-amdhsa--gfx1030
amdhsa.version:
  - 1
  - 2
...

	.end_amdgpu_metadata
